;; amdgpu-corpus repo=ROCm/rocFFT kind=compiled arch=gfx906 opt=O3
	.text
	.amdgcn_target "amdgcn-amd-amdhsa--gfx906"
	.amdhsa_code_object_version 6
	.protected	fft_rtc_fwd_len100_factors_10_10_wgs_60_tpt_10_halfLds_dp_op_CI_CI_unitstride_sbrr_C2R_dirReg ; -- Begin function fft_rtc_fwd_len100_factors_10_10_wgs_60_tpt_10_halfLds_dp_op_CI_CI_unitstride_sbrr_C2R_dirReg
	.globl	fft_rtc_fwd_len100_factors_10_10_wgs_60_tpt_10_halfLds_dp_op_CI_CI_unitstride_sbrr_C2R_dirReg
	.p2align	8
	.type	fft_rtc_fwd_len100_factors_10_10_wgs_60_tpt_10_halfLds_dp_op_CI_CI_unitstride_sbrr_C2R_dirReg,@function
fft_rtc_fwd_len100_factors_10_10_wgs_60_tpt_10_halfLds_dp_op_CI_CI_unitstride_sbrr_C2R_dirReg: ; @fft_rtc_fwd_len100_factors_10_10_wgs_60_tpt_10_halfLds_dp_op_CI_CI_unitstride_sbrr_C2R_dirReg
; %bb.0:
	s_load_dwordx4 s[8:11], s[4:5], 0x58
	s_load_dwordx4 s[12:15], s[4:5], 0x0
	;; [unrolled: 1-line block ×3, first 2 shown]
	v_mul_u32_u24_e32 v1, 0x199a, v0
	v_lshrrev_b32_e32 v1, 16, v1
	v_mad_u64_u32 v[3:4], s[0:1], s6, 6, v[1:2]
	v_mov_b32_e32 v5, 0
	v_mov_b32_e32 v1, 0
	;; [unrolled: 1-line block ×3, first 2 shown]
	s_waitcnt lgkmcnt(0)
	v_cmp_lt_u64_e64 s[0:1], s[14:15], 2
	v_mov_b32_e32 v2, 0
	v_mov_b32_e32 v21, v2
	;; [unrolled: 1-line block ×3, first 2 shown]
	s_and_b64 vcc, exec, s[0:1]
	v_mov_b32_e32 v20, v1
	v_mov_b32_e32 v22, v3
	s_cbranch_vccnz .LBB0_8
; %bb.1:
	s_load_dwordx2 s[0:1], s[4:5], 0x10
	s_add_u32 s2, s18, 8
	s_addc_u32 s3, s19, 0
	s_add_u32 s6, s16, 8
	v_mov_b32_e32 v1, 0
	s_addc_u32 s7, s17, 0
	v_mov_b32_e32 v2, 0
	s_waitcnt lgkmcnt(0)
	s_add_u32 s20, s0, 8
	v_mov_b32_e32 v21, v2
	v_mov_b32_e32 v8, v4
	s_addc_u32 s21, s1, 0
	s_mov_b64 s[22:23], 1
	v_mov_b32_e32 v20, v1
	v_mov_b32_e32 v7, v3
.LBB0_2:                                ; =>This Inner Loop Header: Depth=1
	s_load_dwordx2 s[24:25], s[20:21], 0x0
                                        ; implicit-def: $vgpr22_vgpr23
	s_waitcnt lgkmcnt(0)
	v_or_b32_e32 v6, s25, v8
	v_cmp_ne_u64_e32 vcc, 0, v[5:6]
	s_and_saveexec_b64 s[0:1], vcc
	s_xor_b64 s[26:27], exec, s[0:1]
	s_cbranch_execz .LBB0_4
; %bb.3:                                ;   in Loop: Header=BB0_2 Depth=1
	v_cvt_f32_u32_e32 v4, s24
	v_cvt_f32_u32_e32 v6, s25
	s_sub_u32 s0, 0, s24
	s_subb_u32 s1, 0, s25
	v_mac_f32_e32 v4, 0x4f800000, v6
	v_rcp_f32_e32 v4, v4
	v_mul_f32_e32 v4, 0x5f7ffffc, v4
	v_mul_f32_e32 v6, 0x2f800000, v4
	v_trunc_f32_e32 v6, v6
	v_mac_f32_e32 v4, 0xcf800000, v6
	v_cvt_u32_f32_e32 v6, v6
	v_cvt_u32_f32_e32 v4, v4
	v_mul_lo_u32 v9, s0, v6
	v_mul_hi_u32 v10, s0, v4
	v_mul_lo_u32 v12, s1, v4
	v_mul_lo_u32 v11, s0, v4
	v_add_u32_e32 v9, v10, v9
	v_add_u32_e32 v9, v9, v12
	v_mul_hi_u32 v10, v4, v11
	v_mul_lo_u32 v12, v4, v9
	v_mul_hi_u32 v14, v4, v9
	v_mul_hi_u32 v13, v6, v11
	v_mul_lo_u32 v11, v6, v11
	v_mul_hi_u32 v15, v6, v9
	v_add_co_u32_e32 v10, vcc, v10, v12
	v_addc_co_u32_e32 v12, vcc, 0, v14, vcc
	v_mul_lo_u32 v9, v6, v9
	v_add_co_u32_e32 v10, vcc, v10, v11
	v_addc_co_u32_e32 v10, vcc, v12, v13, vcc
	v_addc_co_u32_e32 v11, vcc, 0, v15, vcc
	v_add_co_u32_e32 v9, vcc, v10, v9
	v_addc_co_u32_e32 v10, vcc, 0, v11, vcc
	v_add_co_u32_e32 v4, vcc, v4, v9
	v_addc_co_u32_e32 v6, vcc, v6, v10, vcc
	v_mul_lo_u32 v9, s0, v6
	v_mul_hi_u32 v10, s0, v4
	v_mul_lo_u32 v11, s1, v4
	v_mul_lo_u32 v12, s0, v4
	v_add_u32_e32 v9, v10, v9
	v_add_u32_e32 v9, v9, v11
	v_mul_lo_u32 v13, v4, v9
	v_mul_hi_u32 v14, v4, v12
	v_mul_hi_u32 v15, v4, v9
	;; [unrolled: 1-line block ×3, first 2 shown]
	v_mul_lo_u32 v12, v6, v12
	v_mul_hi_u32 v10, v6, v9
	v_add_co_u32_e32 v13, vcc, v14, v13
	v_addc_co_u32_e32 v14, vcc, 0, v15, vcc
	v_mul_lo_u32 v9, v6, v9
	v_add_co_u32_e32 v12, vcc, v13, v12
	v_addc_co_u32_e32 v11, vcc, v14, v11, vcc
	v_addc_co_u32_e32 v10, vcc, 0, v10, vcc
	v_add_co_u32_e32 v9, vcc, v11, v9
	v_addc_co_u32_e32 v10, vcc, 0, v10, vcc
	v_add_co_u32_e32 v4, vcc, v4, v9
	v_addc_co_u32_e32 v6, vcc, v6, v10, vcc
	v_mad_u64_u32 v[9:10], s[0:1], v7, v6, 0
	v_mul_hi_u32 v11, v7, v4
	v_add_co_u32_e32 v13, vcc, v11, v9
	v_addc_co_u32_e32 v14, vcc, 0, v10, vcc
	v_mad_u64_u32 v[9:10], s[0:1], v8, v4, 0
	v_mad_u64_u32 v[11:12], s[0:1], v8, v6, 0
	v_add_co_u32_e32 v4, vcc, v13, v9
	v_addc_co_u32_e32 v4, vcc, v14, v10, vcc
	v_addc_co_u32_e32 v6, vcc, 0, v12, vcc
	v_add_co_u32_e32 v4, vcc, v4, v11
	v_addc_co_u32_e32 v6, vcc, 0, v6, vcc
	v_mul_lo_u32 v11, s25, v4
	v_mul_lo_u32 v12, s24, v6
	v_mad_u64_u32 v[9:10], s[0:1], s24, v4, 0
	v_add3_u32 v10, v10, v12, v11
	v_sub_u32_e32 v11, v8, v10
	v_mov_b32_e32 v12, s25
	v_sub_co_u32_e32 v9, vcc, v7, v9
	v_subb_co_u32_e64 v11, s[0:1], v11, v12, vcc
	v_subrev_co_u32_e64 v12, s[0:1], s24, v9
	v_subbrev_co_u32_e64 v11, s[0:1], 0, v11, s[0:1]
	v_cmp_le_u32_e64 s[0:1], s25, v11
	v_cndmask_b32_e64 v13, 0, -1, s[0:1]
	v_cmp_le_u32_e64 s[0:1], s24, v12
	v_cndmask_b32_e64 v12, 0, -1, s[0:1]
	v_cmp_eq_u32_e64 s[0:1], s25, v11
	v_cndmask_b32_e64 v11, v13, v12, s[0:1]
	v_add_co_u32_e64 v12, s[0:1], 2, v4
	v_addc_co_u32_e64 v13, s[0:1], 0, v6, s[0:1]
	v_add_co_u32_e64 v14, s[0:1], 1, v4
	v_addc_co_u32_e64 v15, s[0:1], 0, v6, s[0:1]
	v_subb_co_u32_e32 v10, vcc, v8, v10, vcc
	v_cmp_ne_u32_e64 s[0:1], 0, v11
	v_cmp_le_u32_e32 vcc, s25, v10
	v_cndmask_b32_e64 v11, v15, v13, s[0:1]
	v_cndmask_b32_e64 v13, 0, -1, vcc
	v_cmp_le_u32_e32 vcc, s24, v9
	v_cndmask_b32_e64 v9, 0, -1, vcc
	v_cmp_eq_u32_e32 vcc, s25, v10
	v_cndmask_b32_e32 v9, v13, v9, vcc
	v_cmp_ne_u32_e32 vcc, 0, v9
	v_cndmask_b32_e32 v23, v6, v11, vcc
	v_cndmask_b32_e64 v6, v14, v12, s[0:1]
	v_cndmask_b32_e32 v22, v4, v6, vcc
.LBB0_4:                                ;   in Loop: Header=BB0_2 Depth=1
	s_andn2_saveexec_b64 s[0:1], s[26:27]
	s_cbranch_execz .LBB0_6
; %bb.5:                                ;   in Loop: Header=BB0_2 Depth=1
	v_cvt_f32_u32_e32 v4, s24
	s_sub_i32 s26, 0, s24
	v_mov_b32_e32 v23, v5
	v_rcp_iflag_f32_e32 v4, v4
	v_mul_f32_e32 v4, 0x4f7ffffe, v4
	v_cvt_u32_f32_e32 v4, v4
	v_mul_lo_u32 v6, s26, v4
	v_mul_hi_u32 v6, v4, v6
	v_add_u32_e32 v4, v4, v6
	v_mul_hi_u32 v4, v7, v4
	v_mul_lo_u32 v6, v4, s24
	v_add_u32_e32 v9, 1, v4
	v_sub_u32_e32 v6, v7, v6
	v_subrev_u32_e32 v10, s24, v6
	v_cmp_le_u32_e32 vcc, s24, v6
	v_cndmask_b32_e32 v6, v6, v10, vcc
	v_cndmask_b32_e32 v4, v4, v9, vcc
	v_add_u32_e32 v9, 1, v4
	v_cmp_le_u32_e32 vcc, s24, v6
	v_cndmask_b32_e32 v22, v4, v9, vcc
.LBB0_6:                                ;   in Loop: Header=BB0_2 Depth=1
	s_or_b64 exec, exec, s[0:1]
	v_mul_lo_u32 v4, v23, s24
	v_mul_lo_u32 v6, v22, s25
	v_mad_u64_u32 v[9:10], s[0:1], v22, s24, 0
	s_load_dwordx2 s[0:1], s[6:7], 0x0
	s_load_dwordx2 s[24:25], s[2:3], 0x0
	v_add3_u32 v4, v10, v6, v4
	v_sub_co_u32_e32 v6, vcc, v7, v9
	v_subb_co_u32_e32 v4, vcc, v8, v4, vcc
	s_waitcnt lgkmcnt(0)
	v_mul_lo_u32 v7, s0, v4
	v_mul_lo_u32 v8, s1, v6
	v_mad_u64_u32 v[1:2], s[0:1], s0, v6, v[1:2]
	s_add_u32 s22, s22, 1
	s_addc_u32 s23, s23, 0
	s_add_u32 s2, s2, 8
	v_mul_lo_u32 v4, s24, v4
	v_mul_lo_u32 v9, s25, v6
	v_mad_u64_u32 v[20:21], s[0:1], s24, v6, v[20:21]
	v_add3_u32 v2, v8, v2, v7
	s_addc_u32 s3, s3, 0
	v_mov_b32_e32 v6, s14
	s_add_u32 s6, s6, 8
	v_mov_b32_e32 v7, s15
	s_addc_u32 s7, s7, 0
	v_cmp_ge_u64_e32 vcc, s[22:23], v[6:7]
	s_add_u32 s20, s20, 8
	v_add3_u32 v21, v9, v21, v4
	s_addc_u32 s21, s21, 0
	s_cbranch_vccnz .LBB0_8
; %bb.7:                                ;   in Loop: Header=BB0_2 Depth=1
	v_mov_b32_e32 v7, v22
	v_mov_b32_e32 v8, v23
	s_branch .LBB0_2
.LBB0_8:
	s_mov_b32 s0, 0xaaaaaaab
	v_mul_hi_u32 v4, v3, s0
	s_load_dwordx2 s[0:1], s[4:5], 0x28
	s_lshl_b64 s[6:7], s[14:15], 3
	s_add_u32 s2, s18, s6
	v_lshrrev_b32_e32 v4, 2, v4
	v_mul_lo_u32 v4, v4, 6
	s_waitcnt lgkmcnt(0)
	v_cmp_gt_u64_e32 vcc, s[0:1], v[22:23]
	v_cmp_le_u64_e64 s[0:1], s[0:1], v[22:23]
	s_addc_u32 s3, s19, s7
	v_sub_u32_e32 v3, v3, v4
                                        ; implicit-def: $vgpr24
	s_and_saveexec_b64 s[4:5], s[0:1]
	s_xor_b64 s[0:1], exec, s[4:5]
; %bb.9:
	s_mov_b32 s4, 0x1999999a
	v_mul_hi_u32 v1, v0, s4
	v_mul_u32_u24_e32 v1, 10, v1
	v_sub_u32_e32 v24, v0, v1
                                        ; implicit-def: $vgpr0
                                        ; implicit-def: $vgpr1_vgpr2
; %bb.10:
	s_or_saveexec_b64 s[4:5], s[0:1]
	s_load_dwordx2 s[2:3], s[2:3], 0x0
	v_mul_u32_u24_e32 v3, 0x65, v3
	v_lshlrev_b32_e32 v10, 4, v3
	s_xor_b64 exec, exec, s[4:5]
	s_cbranch_execz .LBB0_14
; %bb.11:
	s_add_u32 s0, s16, s6
	s_addc_u32 s1, s17, s7
	s_load_dwordx2 s[0:1], s[0:1], 0x0
	s_mov_b32 s6, 0x1999999a
	v_mul_hi_u32 v6, v0, s6
	s_waitcnt lgkmcnt(0)
	v_mul_lo_u32 v7, s1, v22
	v_mul_lo_u32 v8, s0, v23
	v_mad_u64_u32 v[4:5], s[0:1], s0, v22, 0
	v_mul_u32_u24_e32 v6, 10, v6
	v_sub_u32_e32 v24, v0, v6
	v_add3_u32 v5, v5, v8, v7
	v_lshlrev_b64 v[4:5], 4, v[4:5]
	v_mov_b32_e32 v0, s9
	v_add_co_u32_e64 v4, s[0:1], s8, v4
	v_addc_co_u32_e64 v5, s[0:1], v0, v5, s[0:1]
	v_lshlrev_b64 v[0:1], 4, v[1:2]
	v_lshlrev_b32_e32 v2, 4, v24
	v_add_co_u32_e64 v0, s[0:1], v4, v0
	v_addc_co_u32_e64 v1, s[0:1], v5, v1, s[0:1]
	v_add_co_u32_e64 v8, s[0:1], v0, v2
	v_addc_co_u32_e64 v9, s[0:1], 0, v1, s[0:1]
	global_load_dwordx4 v[4:7], v[8:9], off
	global_load_dwordx4 v[11:14], v[8:9], off offset:160
	global_load_dwordx4 v[15:18], v[8:9], off offset:320
	;; [unrolled: 1-line block ×9, first 2 shown]
	v_add3_u32 v2, 0, v10, v2
	v_cmp_eq_u32_e64 s[0:1], 9, v24
	s_waitcnt vmcnt(9)
	ds_write_b128 v2, v[4:7]
	s_waitcnt vmcnt(8)
	ds_write_b128 v2, v[11:14] offset:160
	s_waitcnt vmcnt(7)
	ds_write_b128 v2, v[15:18] offset:320
	;; [unrolled: 2-line block ×9, first 2 shown]
	s_and_saveexec_b64 s[6:7], s[0:1]
	s_cbranch_execz .LBB0_13
; %bb.12:
	global_load_dwordx4 v[4:7], v[0:1], off offset:1600
	v_mov_b32_e32 v24, 9
	s_waitcnt vmcnt(0)
	ds_write_b128 v2, v[4:7] offset:1456
.LBB0_13:
	s_or_b64 exec, exec, s[6:7]
.LBB0_14:
	s_or_b64 exec, exec, s[4:5]
	v_lshl_add_u32 v41, v3, 4, 0
	v_lshlrev_b32_e32 v11, 4, v24
	v_add_u32_e32 v35, v41, v11
	s_waitcnt lgkmcnt(0)
	; wave barrier
	s_waitcnt lgkmcnt(0)
	v_sub_u32_e32 v12, v41, v11
	ds_read_b64 v[6:7], v35
	ds_read_b64 v[8:9], v12 offset:1600
	v_cmp_ne_u32_e64 s[0:1], 0, v24
                                        ; implicit-def: $vgpr4_vgpr5
	s_waitcnt lgkmcnt(0)
	v_add_f64 v[0:1], v[6:7], v[8:9]
	v_add_f64 v[2:3], v[6:7], -v[8:9]
	s_and_saveexec_b64 s[4:5], s[0:1]
	s_xor_b64 s[4:5], exec, s[4:5]
	s_cbranch_execz .LBB0_16
; %bb.15:
	v_mov_b32_e32 v25, 0
	v_lshlrev_b64 v[0:1], 4, v[24:25]
	v_mov_b32_e32 v2, s13
	v_add_co_u32_e64 v0, s[0:1], s12, v0
	v_addc_co_u32_e64 v1, s[0:1], v2, v1, s[0:1]
	global_load_dwordx4 v[2:5], v[0:1], off offset:1440
	ds_read_b64 v[0:1], v12 offset:1608
	ds_read_b64 v[13:14], v35 offset:8
	v_add_f64 v[15:16], v[6:7], v[8:9]
	v_add_f64 v[8:9], v[6:7], -v[8:9]
	s_waitcnt lgkmcnt(0)
	v_add_f64 v[17:18], v[0:1], v[13:14]
	v_add_f64 v[0:1], v[13:14], -v[0:1]
	s_waitcnt vmcnt(0)
	v_fma_f64 v[6:7], -v[8:9], v[4:5], v[15:16]
	v_fma_f64 v[13:14], v[17:18], v[4:5], -v[0:1]
	v_fma_f64 v[15:16], v[8:9], v[4:5], v[15:16]
	v_fma_f64 v[26:27], v[17:18], v[4:5], v[0:1]
	;; [unrolled: 1-line block ×4, first 2 shown]
	v_fma_f64 v[0:1], -v[17:18], v[2:3], v[15:16]
	v_fma_f64 v[2:3], v[8:9], v[2:3], v[26:27]
	ds_write_b128 v12, v[4:7] offset:1600
	v_mov_b32_e32 v4, v24
	v_mov_b32_e32 v5, v25
.LBB0_16:
	s_andn2_saveexec_b64 s[0:1], s[4:5]
	s_cbranch_execz .LBB0_18
; %bb.17:
	ds_read_b128 v[4:7], v41 offset:800
	s_waitcnt lgkmcnt(0)
	v_add_f64 v[13:14], v[4:5], v[4:5]
	v_mul_f64 v[15:16], v[6:7], -2.0
	v_mov_b32_e32 v4, 0
	v_mov_b32_e32 v5, 0
	ds_write_b128 v41, v[13:16] offset:800
.LBB0_18:
	s_or_b64 exec, exec, s[0:1]
	ds_write_b128 v35, v[0:3]
	ds_read_b128 v[0:3], v35 offset:160
	ds_read_b128 v[6:9], v12 offset:1440
	s_add_u32 s0, s12, 0x5a0
	s_addc_u32 s4, s13, 0
	v_add3_u32 v42, 0, v11, v10
	s_mov_b32 s8, 0x134454ff
	s_waitcnt lgkmcnt(0)
	v_add_f64 v[13:14], v[0:1], v[6:7]
	v_add_f64 v[17:18], v[0:1], -v[6:7]
	v_lshlrev_b64 v[0:1], 4, v[4:5]
	v_add_f64 v[15:16], v[8:9], v[2:3]
	v_add_co_u32_e64 v25, s[0:1], s0, v0
	v_mov_b32_e32 v0, s4
	v_addc_co_u32_e64 v26, s[0:1], v0, v1, s[0:1]
	v_add_f64 v[8:9], v[2:3], -v[8:9]
	global_load_dwordx4 v[0:3], v[25:26], off offset:160
	s_mov_b32 s9, 0x3fee6f0e
	s_mov_b32 s7, 0xbfee6f0e
	s_mov_b32 s6, s8
	s_mov_b32 s14, 0x4755a5e
	s_mov_b32 s15, 0x3fe2cf23
	s_mov_b32 s1, 0xbfe2cf23
	s_mov_b32 s0, s14
	s_mov_b32 s4, 0x372fe950
	s_mov_b32 s5, 0x3fd3c6ef
	s_mov_b32 s16, 0x9b97f4a8
	s_mov_b32 s17, 0x3fe9e377
	s_movk_i32 s18, 0x90
	s_waitcnt vmcnt(0)
	v_fma_f64 v[4:5], v[17:18], v[2:3], v[13:14]
	v_fma_f64 v[6:7], v[15:16], v[2:3], v[8:9]
	v_fma_f64 v[4:5], -v[15:16], v[0:1], v[4:5]
	v_fma_f64 v[6:7], v[17:18], v[0:1], v[6:7]
	ds_write_b128 v35, v[4:7] offset:160
	v_fma_f64 v[4:5], -v[17:18], v[2:3], v[13:14]
	v_fma_f64 v[2:3], v[15:16], v[2:3], -v[8:9]
	v_fma_f64 v[4:5], v[15:16], v[0:1], v[4:5]
	v_fma_f64 v[6:7], v[17:18], v[0:1], v[2:3]
	ds_write_b128 v12, v[4:7] offset:1440
	ds_read_b128 v[0:3], v35 offset:320
	ds_read_b128 v[4:7], v12 offset:1280
	s_waitcnt lgkmcnt(0)
	v_add_f64 v[8:9], v[0:1], v[4:5]
	v_add_f64 v[13:14], v[6:7], v[2:3]
	v_add_f64 v[15:16], v[0:1], -v[4:5]
	v_add_f64 v[17:18], v[2:3], -v[6:7]
	global_load_dwordx4 v[0:3], v[25:26], off offset:320
	s_waitcnt vmcnt(0)
	v_fma_f64 v[4:5], v[15:16], v[2:3], v[8:9]
	v_fma_f64 v[6:7], v[13:14], v[2:3], v[17:18]
	v_fma_f64 v[4:5], -v[13:14], v[0:1], v[4:5]
	v_fma_f64 v[6:7], v[15:16], v[0:1], v[6:7]
	ds_write_b128 v35, v[4:7] offset:320
	v_fma_f64 v[4:5], -v[15:16], v[2:3], v[8:9]
	v_fma_f64 v[2:3], v[13:14], v[2:3], -v[17:18]
	v_fma_f64 v[4:5], v[13:14], v[0:1], v[4:5]
	v_fma_f64 v[6:7], v[15:16], v[0:1], v[2:3]
	ds_write_b128 v12, v[4:7] offset:1280
	ds_read_b128 v[0:3], v35 offset:480
	ds_read_b128 v[4:7], v12 offset:1120
	s_waitcnt lgkmcnt(0)
	v_add_f64 v[8:9], v[0:1], v[4:5]
	v_add_f64 v[13:14], v[6:7], v[2:3]
	v_add_f64 v[15:16], v[0:1], -v[4:5]
	v_add_f64 v[17:18], v[2:3], -v[6:7]
	global_load_dwordx4 v[0:3], v[25:26], off offset:480
	;; [unrolled: 19-line block ×3, first 2 shown]
	s_waitcnt vmcnt(0)
	v_fma_f64 v[4:5], v[15:16], v[2:3], v[8:9]
	v_fma_f64 v[6:7], v[13:14], v[2:3], v[17:18]
	v_fma_f64 v[4:5], -v[13:14], v[0:1], v[4:5]
	v_fma_f64 v[6:7], v[15:16], v[0:1], v[6:7]
	ds_write_b128 v35, v[4:7] offset:640
	v_fma_f64 v[4:5], -v[15:16], v[2:3], v[8:9]
	v_fma_f64 v[2:3], v[13:14], v[2:3], -v[17:18]
	v_fma_f64 v[4:5], v[13:14], v[0:1], v[4:5]
	v_fma_f64 v[6:7], v[15:16], v[0:1], v[2:3]
	ds_write_b128 v12, v[4:7] offset:960
	s_waitcnt lgkmcnt(0)
	; wave barrier
	s_waitcnt lgkmcnt(0)
	s_waitcnt lgkmcnt(0)
	; wave barrier
	s_waitcnt lgkmcnt(0)
	ds_read_b128 v[36:39], v35
	ds_read_b128 v[0:3], v42 offset:160
	ds_read_b128 v[43:46], v42 offset:320
	;; [unrolled: 1-line block ×9, first 2 shown]
	s_waitcnt lgkmcnt(5)
	v_add_f64 v[31:32], v[43:44], -v[47:48]
	s_waitcnt lgkmcnt(3)
	v_add_f64 v[27:28], v[47:48], v[51:52]
	v_add_f64 v[59:60], v[49:50], -v[53:54]
	s_waitcnt lgkmcnt(1)
	v_add_f64 v[33:34], v[45:46], -v[57:58]
	v_add_f64 v[61:62], v[55:56], -v[51:52]
	v_add_f64 v[25:26], v[36:37], v[43:44]
	v_add_f64 v[63:64], v[51:52], -v[55:56]
	s_waitcnt lgkmcnt(0)
	; wave barrier
	s_waitcnt lgkmcnt(0)
	v_fma_f64 v[29:30], v[27:28], -0.5, v[36:37]
	v_add_f64 v[31:32], v[31:32], v[61:62]
	v_add_f64 v[25:26], v[25:26], v[47:48]
	v_add_f64 v[61:62], v[47:48], -v[43:44]
	v_add_f64 v[47:48], v[47:48], -v[51:52]
	v_fma_f64 v[27:28], v[33:34], s[8:9], v[29:30]
	v_fma_f64 v[29:30], v[33:34], s[6:7], v[29:30]
	v_add_f64 v[25:26], v[25:26], v[51:52]
	v_add_f64 v[61:62], v[61:62], v[63:64]
	v_add_f64 v[63:64], v[12:13], -v[16:17]
	v_fma_f64 v[27:28], v[59:60], s[14:15], v[27:28]
	v_fma_f64 v[29:30], v[59:60], s[0:1], v[29:30]
	v_add_f64 v[25:26], v[25:26], v[55:56]
	v_fma_f64 v[27:28], v[31:32], s[4:5], v[27:28]
	v_fma_f64 v[29:30], v[31:32], s[4:5], v[29:30]
	v_add_f64 v[31:32], v[43:44], v[55:56]
	v_add_f64 v[43:44], v[43:44], -v[55:56]
	v_fma_f64 v[36:37], v[31:32], -0.5, v[36:37]
	v_fma_f64 v[31:32], v[59:60], s[6:7], v[36:37]
	v_fma_f64 v[36:37], v[59:60], s[8:9], v[36:37]
	v_fma_f64 v[31:32], v[33:34], s[14:15], v[31:32]
	v_fma_f64 v[33:34], v[33:34], s[0:1], v[36:37]
	v_add_f64 v[36:37], v[38:39], v[45:46]
	v_fma_f64 v[31:32], v[61:62], s[4:5], v[31:32]
	v_fma_f64 v[33:34], v[61:62], s[4:5], v[33:34]
	v_add_f64 v[36:37], v[36:37], v[49:50]
	v_add_f64 v[61:62], v[57:58], -v[53:54]
	v_add_f64 v[36:37], v[36:37], v[53:54]
	v_add_f64 v[59:60], v[36:37], v[57:58]
	;; [unrolled: 1-line block ×3, first 2 shown]
	v_fma_f64 v[36:37], v[36:37], -0.5, v[38:39]
	v_fma_f64 v[55:56], v[43:44], s[6:7], v[36:37]
	v_fma_f64 v[36:37], v[43:44], s[8:9], v[36:37]
	;; [unrolled: 1-line block ×3, first 2 shown]
	v_add_f64 v[55:56], v[45:46], -v[49:50]
	v_fma_f64 v[36:37], v[47:48], s[14:15], v[36:37]
	v_add_f64 v[55:56], v[55:56], v[61:62]
	v_add_f64 v[61:62], v[16:17], -v[12:13]
	v_fma_f64 v[51:52], v[55:56], s[4:5], v[51:52]
	v_fma_f64 v[55:56], v[55:56], s[4:5], v[36:37]
	v_add_f64 v[36:37], v[45:46], v[57:58]
	v_add_f64 v[45:46], v[49:50], -v[45:46]
	v_add_f64 v[49:50], v[53:54], -v[57:58]
	;; [unrolled: 1-line block ×4, first 2 shown]
	v_fma_f64 v[36:37], v[36:37], -0.5, v[38:39]
	v_add_f64 v[45:46], v[45:46], v[49:50]
	v_add_f64 v[57:58], v[57:58], v[61:62]
	v_add_f64 v[61:62], v[8:9], -v[4:5]
	v_fma_f64 v[38:39], v[47:48], s[8:9], v[36:37]
	v_fma_f64 v[36:37], v[47:48], s[6:7], v[36:37]
	v_add_f64 v[61:62], v[61:62], v[63:64]
	v_fma_f64 v[38:39], v[43:44], s[0:1], v[38:39]
	v_fma_f64 v[36:37], v[43:44], s[14:15], v[36:37]
	v_add_f64 v[43:44], v[6:7], -v[18:19]
	v_fma_f64 v[49:50], v[45:46], s[4:5], v[38:39]
	v_add_f64 v[38:39], v[8:9], v[12:13]
	v_fma_f64 v[45:46], v[45:46], s[4:5], v[36:37]
	v_add_f64 v[36:37], v[0:1], v[4:5]
	v_fma_f64 v[38:39], v[38:39], -0.5, v[0:1]
	v_add_f64 v[36:37], v[36:37], v[8:9]
	v_add_f64 v[8:9], v[8:9], -v[12:13]
	v_fma_f64 v[47:48], v[43:44], s[8:9], v[38:39]
	v_fma_f64 v[38:39], v[43:44], s[6:7], v[38:39]
	v_add_f64 v[36:37], v[36:37], v[12:13]
	v_fma_f64 v[47:48], v[53:54], s[14:15], v[47:48]
	v_fma_f64 v[38:39], v[53:54], s[0:1], v[38:39]
	v_add_f64 v[36:37], v[36:37], v[16:17]
	;; [unrolled: 3-line block ×3, first 2 shown]
	v_add_f64 v[4:5], v[4:5], -v[16:17]
	v_fma_f64 v[0:1], v[57:58], -0.5, v[0:1]
	v_fma_f64 v[57:58], v[53:54], s[6:7], v[0:1]
	v_fma_f64 v[0:1], v[53:54], s[8:9], v[0:1]
	;; [unrolled: 1-line block ×6, first 2 shown]
	v_add_f64 v[0:1], v[2:3], v[6:7]
	v_add_f64 v[61:62], v[18:19], -v[14:15]
	v_add_f64 v[0:1], v[0:1], v[10:11]
	v_add_f64 v[0:1], v[0:1], v[14:15]
	;; [unrolled: 1-line block ×4, first 2 shown]
	v_fma_f64 v[0:1], v[0:1], -0.5, v[2:3]
	v_fma_f64 v[16:17], v[4:5], s[6:7], v[0:1]
	v_fma_f64 v[0:1], v[4:5], s[8:9], v[0:1]
	;; [unrolled: 1-line block ×3, first 2 shown]
	v_add_f64 v[16:17], v[6:7], -v[10:11]
	v_fma_f64 v[0:1], v[8:9], s[14:15], v[0:1]
	v_add_f64 v[16:17], v[16:17], v[61:62]
	v_fma_f64 v[63:64], v[16:17], s[4:5], v[0:1]
	v_add_f64 v[0:1], v[6:7], v[18:19]
	v_add_f64 v[6:7], v[10:11], -v[6:7]
	v_add_f64 v[10:11], v[14:15], -v[18:19]
	v_fma_f64 v[61:62], v[16:17], s[4:5], v[12:13]
	v_mul_f64 v[18:19], v[57:58], s[6:7]
	v_fma_f64 v[0:1], v[0:1], -0.5, v[2:3]
	v_add_f64 v[6:7], v[6:7], v[10:11]
	v_fma_f64 v[2:3], v[8:9], s[8:9], v[0:1]
	v_fma_f64 v[0:1], v[8:9], s[6:7], v[0:1]
	;; [unrolled: 1-line block ×5, first 2 shown]
	v_mul_f64 v[2:3], v[47:48], s[16:17]
	v_fma_f64 v[14:15], v[6:7], s[4:5], v[0:1]
	v_mul_f64 v[6:7], v[47:48], s[0:1]
	v_add_f64 v[0:1], v[25:26], v[36:37]
	v_add_f64 v[25:26], v[25:26], -v[36:37]
	v_fma_f64 v[65:66], v[61:62], s[14:15], v[2:3]
	v_mul_f64 v[2:3], v[10:11], s[8:9]
	v_fma_f64 v[61:62], v[61:62], s[16:17], v[6:7]
	v_add_f64 v[4:5], v[27:28], v[65:66]
	v_fma_f64 v[67:68], v[57:58], s[4:5], v[2:3]
	v_mul_f64 v[2:3], v[43:44], s[4:5]
	v_fma_f64 v[57:58], v[10:11], s[4:5], v[18:19]
	v_mul_f64 v[18:19], v[63:64], s[16:17]
	v_add_f64 v[6:7], v[51:52], v[61:62]
	v_add_f64 v[36:37], v[27:28], -v[65:66]
	v_add_f64 v[27:28], v[59:60], -v[53:54]
	v_add_f64 v[8:9], v[31:32], v[67:68]
	v_fma_f64 v[69:70], v[14:15], s[8:9], -v[2:3]
	v_mul_f64 v[14:15], v[14:15], s[4:5]
	v_mul_f64 v[2:3], v[38:39], s[16:17]
	v_add_f64 v[10:11], v[49:50], v[57:58]
	v_add_f64 v[31:32], v[31:32], -v[67:68]
	v_add_f64 v[12:13], v[33:34], v[69:70]
	v_fma_f64 v[73:74], v[43:44], s[6:7], -v[14:15]
	v_fma_f64 v[71:72], v[63:64], s[14:15], -v[2:3]
	;; [unrolled: 1-line block ×3, first 2 shown]
	v_add_f64 v[2:3], v[59:60], v[53:54]
	v_add_f64 v[38:39], v[51:52], -v[61:62]
	v_add_f64 v[43:44], v[33:34], -v[69:70]
	;; [unrolled: 1-line block ×3, first 2 shown]
	v_add_f64 v[14:15], v[45:46], v[73:74]
	v_add_f64 v[16:17], v[29:30], v[71:72]
	;; [unrolled: 1-line block ×3, first 2 shown]
	v_add_f64 v[47:48], v[29:30], -v[71:72]
	v_mad_u32_u24 v29, v24, s18, v42
	v_add_f64 v[45:46], v[45:46], -v[73:74]
	v_add_f64 v[49:50], v[55:56], -v[63:64]
	ds_write_b128 v29, v[0:3]
	ds_write_b128 v29, v[4:7] offset:16
	ds_write_b128 v29, v[8:11] offset:32
	;; [unrolled: 1-line block ×9, first 2 shown]
	v_mul_u32_u24_e32 v29, 9, v24
	v_lshlrev_b32_e32 v71, 4, v29
	s_waitcnt lgkmcnt(0)
	; wave barrier
	s_waitcnt lgkmcnt(0)
	ds_read_b128 v[0:3], v35
	ds_read_b128 v[4:7], v42 offset:160
	ds_read_b128 v[8:11], v42 offset:320
	;; [unrolled: 1-line block ×9, first 2 shown]
	global_load_dwordx4 v[35:38], v71, s[12:13] offset:48
	global_load_dwordx4 v[55:58], v71, s[12:13] offset:32
	;; [unrolled: 1-line block ×3, first 2 shown]
	global_load_dwordx4 v[63:66], v71, s[12:13]
	s_waitcnt vmcnt(0) lgkmcnt(8)
	v_mul_f64 v[29:30], v[6:7], v[65:66]
	v_fma_f64 v[29:30], v[4:5], v[63:64], -v[29:30]
	v_mul_f64 v[4:5], v[4:5], v[65:66]
	v_fma_f64 v[6:7], v[6:7], v[63:64], v[4:5]
	s_waitcnt lgkmcnt(7)
	v_mul_f64 v[4:5], v[10:11], v[61:62]
	v_fma_f64 v[63:64], v[8:9], v[59:60], -v[4:5]
	v_mul_f64 v[4:5], v[8:9], v[61:62]
	s_waitcnt lgkmcnt(5)
	v_mul_f64 v[8:9], v[18:19], v[37:38]
	v_fma_f64 v[65:66], v[10:11], v[59:60], v[4:5]
	v_mul_f64 v[4:5], v[14:15], v[57:58]
	v_fma_f64 v[67:68], v[16:17], v[35:36], -v[8:9]
	v_mul_f64 v[8:9], v[16:17], v[37:38]
	v_fma_f64 v[10:11], v[12:13], v[55:56], -v[4:5]
	v_mul_f64 v[4:5], v[12:13], v[57:58]
	v_fma_f64 v[69:70], v[18:19], v[35:36], v[8:9]
	v_fma_f64 v[4:5], v[14:15], v[55:56], v[4:5]
	global_load_dwordx4 v[12:15], v71, s[12:13] offset:112
	global_load_dwordx4 v[55:58], v71, s[12:13] offset:96
	;; [unrolled: 1-line block ×4, first 2 shown]
	s_waitcnt vmcnt(0) lgkmcnt(4)
	v_mul_f64 v[8:9], v[27:28], v[18:19]
	v_fma_f64 v[37:38], v[25:26], v[16:17], -v[8:9]
	v_mul_f64 v[8:9], v[25:26], v[18:19]
	v_fma_f64 v[16:17], v[27:28], v[16:17], v[8:9]
	s_waitcnt lgkmcnt(3)
	v_mul_f64 v[8:9], v[33:34], v[61:62]
	v_fma_f64 v[25:26], v[31:32], v[59:60], -v[8:9]
	v_mul_f64 v[8:9], v[31:32], v[61:62]
	v_add_f64 v[31:32], v[63:64], -v[67:68]
	v_fma_f64 v[33:34], v[33:34], v[59:60], v[8:9]
	s_waitcnt lgkmcnt(2)
	v_mul_f64 v[8:9], v[45:46], v[57:58]
	v_add_f64 v[35:36], v[69:70], -v[33:34]
	v_fma_f64 v[39:40], v[43:44], v[55:56], -v[8:9]
	v_mul_f64 v[8:9], v[43:44], v[57:58]
	v_add_f64 v[57:58], v[10:11], -v[37:38]
	v_fma_f64 v[18:19], v[45:46], v[55:56], v[8:9]
	s_waitcnt lgkmcnt(1)
	v_mul_f64 v[8:9], v[49:50], v[14:15]
	v_fma_f64 v[43:44], v[47:48], v[12:13], -v[8:9]
	v_mul_f64 v[8:9], v[47:48], v[14:15]
	v_fma_f64 v[45:46], v[49:50], v[12:13], v[8:9]
	global_load_dwordx4 v[12:15], v71, s[12:13] offset:128
	s_waitcnt lgkmcnt(0)
	; wave barrier
	s_waitcnt lgkmcnt(0)
	v_add_f64 v[27:28], v[65:66], -v[45:46]
	v_add_f64 v[55:56], v[45:46], -v[33:34]
	s_waitcnt vmcnt(0)
	v_mul_f64 v[8:9], v[53:54], v[14:15]
	v_fma_f64 v[47:48], v[51:52], v[12:13], -v[8:9]
	v_mul_f64 v[8:9], v[51:52], v[14:15]
	v_add_f64 v[51:52], v[43:44], -v[25:26]
	v_add_f64 v[59:60], v[47:48], -v[39:40]
	v_fma_f64 v[49:50], v[53:54], v[12:13], v[8:9]
	v_add_f64 v[12:13], v[67:68], v[25:26]
	v_add_f64 v[31:32], v[31:32], v[51:52]
	;; [unrolled: 1-line block ×3, first 2 shown]
	v_add_f64 v[51:52], v[67:68], -v[63:64]
	v_add_f64 v[53:54], v[25:26], -v[43:44]
	;; [unrolled: 1-line block ×3, first 2 shown]
	v_add_f64 v[57:58], v[57:58], v[59:60]
	v_add_f64 v[59:60], v[37:38], -v[10:11]
	v_fma_f64 v[14:15], v[12:13], -0.5, v[0:1]
	v_add_f64 v[8:9], v[8:9], v[67:68]
	v_add_f64 v[51:52], v[51:52], v[53:54]
	v_add_f64 v[53:54], v[67:68], -v[25:26]
	v_add_f64 v[59:60], v[59:60], v[61:62]
	v_fma_f64 v[12:13], v[27:28], s[8:9], v[14:15]
	v_fma_f64 v[14:15], v[27:28], s[6:7], v[14:15]
	v_add_f64 v[8:9], v[8:9], v[25:26]
	v_fma_f64 v[12:13], v[35:36], s[14:15], v[12:13]
	v_fma_f64 v[14:15], v[35:36], s[0:1], v[14:15]
	;; [unrolled: 3-line block ×3, first 2 shown]
	v_add_f64 v[31:32], v[63:64], v[43:44]
	v_add_f64 v[43:44], v[63:64], -v[43:44]
	v_fma_f64 v[0:1], v[31:32], -0.5, v[0:1]
	v_fma_f64 v[31:32], v[35:36], s[6:7], v[0:1]
	v_fma_f64 v[0:1], v[35:36], s[8:9], v[0:1]
	v_fma_f64 v[31:32], v[27:28], s[14:15], v[31:32]
	v_fma_f64 v[0:1], v[27:28], s[0:1], v[0:1]
	v_fma_f64 v[31:32], v[51:52], s[4:5], v[31:32]
	v_fma_f64 v[35:36], v[51:52], s[4:5], v[0:1]
	v_add_f64 v[0:1], v[2:3], v[65:66]
	v_add_f64 v[0:1], v[0:1], v[69:70]
	;; [unrolled: 1-line block ×5, first 2 shown]
	v_add_f64 v[33:34], v[33:34], -v[45:46]
	v_fma_f64 v[0:1], v[0:1], -0.5, v[2:3]
	v_fma_f64 v[51:52], v[43:44], s[6:7], v[0:1]
	v_fma_f64 v[0:1], v[43:44], s[8:9], v[0:1]
	;; [unrolled: 1-line block ×3, first 2 shown]
	v_add_f64 v[51:52], v[65:66], -v[69:70]
	v_fma_f64 v[0:1], v[53:54], s[14:15], v[0:1]
	v_add_f64 v[51:52], v[51:52], v[55:56]
	v_add_f64 v[55:56], v[69:70], -v[65:66]
	v_fma_f64 v[25:26], v[51:52], s[4:5], v[25:26]
	v_fma_f64 v[0:1], v[51:52], s[4:5], v[0:1]
	v_add_f64 v[51:52], v[65:66], v[45:46]
	v_add_f64 v[45:46], v[55:56], v[33:34]
	v_add_f64 v[55:56], v[16:17], -v[18:19]
	v_fma_f64 v[2:3], v[51:52], -0.5, v[2:3]
	v_fma_f64 v[51:52], v[53:54], s[8:9], v[2:3]
	v_fma_f64 v[2:3], v[53:54], s[6:7], v[2:3]
	;; [unrolled: 1-line block ×4, first 2 shown]
	v_add_f64 v[43:44], v[29:30], v[10:11]
	v_fma_f64 v[33:34], v[45:46], s[4:5], v[51:52]
	v_fma_f64 v[2:3], v[45:46], s[4:5], v[2:3]
	v_add_f64 v[43:44], v[43:44], v[37:38]
	v_add_f64 v[45:46], v[4:5], -v[49:50]
	v_add_f64 v[43:44], v[43:44], v[39:40]
	v_add_f64 v[51:52], v[43:44], v[47:48]
	;; [unrolled: 1-line block ×3, first 2 shown]
	v_add_f64 v[37:38], v[37:38], -v[39:40]
	v_fma_f64 v[43:44], v[43:44], -0.5, v[29:30]
	v_fma_f64 v[53:54], v[45:46], s[8:9], v[43:44]
	v_fma_f64 v[43:44], v[45:46], s[6:7], v[43:44]
	;; [unrolled: 1-line block ×6, first 2 shown]
	v_add_f64 v[43:44], v[10:11], v[47:48]
	v_add_f64 v[10:11], v[10:11], -v[47:48]
	v_add_f64 v[47:48], v[49:50], -v[18:19]
	v_fma_f64 v[29:30], v[43:44], -0.5, v[29:30]
	v_fma_f64 v[43:44], v[55:56], s[6:7], v[29:30]
	v_fma_f64 v[29:30], v[55:56], s[8:9], v[29:30]
	v_fma_f64 v[43:44], v[45:46], s[14:15], v[43:44]
	v_fma_f64 v[29:30], v[45:46], s[0:1], v[29:30]
	v_fma_f64 v[61:62], v[59:60], s[4:5], v[43:44]
	v_add_f64 v[43:44], v[6:7], v[4:5]
	v_fma_f64 v[29:30], v[59:60], s[4:5], v[29:30]
	v_add_f64 v[43:44], v[43:44], v[16:17]
	v_add_f64 v[43:44], v[43:44], v[18:19]
	;; [unrolled: 1-line block ×4, first 2 shown]
	v_fma_f64 v[43:44], v[43:44], -0.5, v[6:7]
	v_fma_f64 v[45:46], v[10:11], s[6:7], v[43:44]
	v_fma_f64 v[43:44], v[10:11], s[8:9], v[43:44]
	;; [unrolled: 1-line block ×3, first 2 shown]
	v_add_f64 v[45:46], v[4:5], -v[16:17]
	v_fma_f64 v[43:44], v[37:38], s[14:15], v[43:44]
	v_add_f64 v[45:46], v[45:46], v[47:48]
	v_fma_f64 v[55:56], v[45:46], s[4:5], v[43:44]
	v_add_f64 v[43:44], v[4:5], v[49:50]
	v_add_f64 v[4:5], v[16:17], -v[4:5]
	v_add_f64 v[16:17], v[18:19], -v[49:50]
	v_fma_f64 v[39:40], v[45:46], s[4:5], v[39:40]
	v_mul_f64 v[18:19], v[53:54], s[0:1]
	v_fma_f64 v[6:7], v[43:44], -0.5, v[6:7]
	v_add_f64 v[4:5], v[4:5], v[16:17]
	v_fma_f64 v[43:44], v[37:38], s[8:9], v[6:7]
	v_fma_f64 v[6:7], v[37:38], s[6:7], v[6:7]
	;; [unrolled: 1-line block ×6, first 2 shown]
	v_mul_f64 v[6:7], v[39:40], s[14:15]
	v_add_f64 v[4:5], v[8:9], v[51:52]
	v_add_f64 v[8:9], v[8:9], -v[51:52]
	v_fma_f64 v[63:64], v[53:54], s[16:17], v[6:7]
	v_mul_f64 v[6:7], v[45:46], s[8:9]
	v_fma_f64 v[53:54], v[39:40], s[16:17], v[18:19]
	v_mul_f64 v[39:40], v[61:62], s[6:7]
	v_add_f64 v[16:17], v[12:13], v[63:64]
	v_fma_f64 v[65:66], v[61:62], s[4:5], v[6:7]
	v_mul_f64 v[6:7], v[29:30], s[4:5]
	v_fma_f64 v[61:62], v[45:46], s[4:5], v[39:40]
	v_add_f64 v[18:19], v[25:26], v[53:54]
	v_add_f64 v[12:13], v[12:13], -v[63:64]
	v_add_f64 v[37:38], v[31:32], v[65:66]
	v_fma_f64 v[67:68], v[10:11], s[8:9], -v[6:7]
	v_mul_f64 v[10:11], v[10:11], s[4:5]
	v_mul_f64 v[6:7], v[57:58], s[16:17]
	v_add_f64 v[39:40], v[33:34], v[61:62]
	v_add_f64 v[43:44], v[35:36], v[67:68]
	v_fma_f64 v[71:72], v[29:30], s[6:7], -v[10:11]
	v_mul_f64 v[10:11], v[55:56], s[16:17]
	v_fma_f64 v[69:70], v[55:56], s[14:15], -v[6:7]
	v_add_f64 v[6:7], v[27:28], v[59:60]
	v_add_f64 v[29:30], v[31:32], -v[65:66]
	v_add_f64 v[31:32], v[33:34], -v[61:62]
	v_add_f64 v[51:52], v[35:36], -v[67:68]
	v_add_f64 v[45:46], v[2:3], v[71:72]
	v_fma_f64 v[57:58], v[57:58], s[0:1], -v[10:11]
	v_add_f64 v[47:48], v[14:15], v[69:70]
	v_add_f64 v[10:11], v[27:28], -v[59:60]
	v_add_f64 v[55:56], v[14:15], -v[69:70]
	;; [unrolled: 1-line block ×4, first 2 shown]
	v_add_f64 v[49:50], v[0:1], v[57:58]
	v_add_f64 v[57:58], v[0:1], -v[57:58]
	ds_write_b128 v42, v[4:7]
	ds_write_b128 v42, v[16:19] offset:160
	ds_write_b128 v42, v[37:40] offset:320
	;; [unrolled: 1-line block ×9, first 2 shown]
	s_waitcnt lgkmcnt(0)
	; wave barrier
	s_waitcnt lgkmcnt(0)
	s_and_saveexec_b64 s[0:1], vcc
	s_cbranch_execz .LBB0_20
; %bb.19:
	v_mul_lo_u32 v0, s3, v22
	v_mul_lo_u32 v1, s2, v23
	v_mad_u64_u32 v[4:5], s[0:1], s2, v22, 0
	v_mov_b32_e32 v6, s11
	v_lshl_add_u32 v10, v24, 4, v41
	v_add3_u32 v5, v5, v1, v0
	v_lshlrev_b64 v[4:5], 4, v[4:5]
	v_mov_b32_e32 v25, 0
	v_add_co_u32_e32 v7, vcc, s10, v4
	v_addc_co_u32_e32 v6, vcc, v6, v5, vcc
	v_lshlrev_b64 v[4:5], 4, v[20:21]
	ds_read_b128 v[0:3], v10
	v_add_co_u32_e32 v11, vcc, v7, v4
	v_addc_co_u32_e32 v12, vcc, v6, v5, vcc
	v_lshlrev_b64 v[4:5], 4, v[24:25]
	v_add_co_u32_e32 v8, vcc, v11, v4
	v_addc_co_u32_e32 v9, vcc, v12, v5, vcc
	ds_read_b128 v[4:7], v10 offset:160
	s_waitcnt lgkmcnt(1)
	global_store_dwordx4 v[8:9], v[0:3], off
	s_nop 0
	v_add_u32_e32 v0, 10, v24
	v_mov_b32_e32 v1, v25
	v_lshlrev_b64 v[0:1], 4, v[0:1]
	v_add_co_u32_e32 v0, vcc, v11, v0
	v_addc_co_u32_e32 v1, vcc, v12, v1, vcc
	s_waitcnt lgkmcnt(0)
	global_store_dwordx4 v[0:1], v[4:7], off
	ds_read_b128 v[0:3], v10 offset:320
	v_add_u32_e32 v4, 20, v24
	v_mov_b32_e32 v5, v25
	v_lshlrev_b64 v[4:5], 4, v[4:5]
	v_add_co_u32_e32 v8, vcc, v11, v4
	v_addc_co_u32_e32 v9, vcc, v12, v5, vcc
	ds_read_b128 v[4:7], v10 offset:480
	s_waitcnt lgkmcnt(1)
	global_store_dwordx4 v[8:9], v[0:3], off
	s_nop 0
	v_add_u32_e32 v0, 30, v24
	v_mov_b32_e32 v1, v25
	v_lshlrev_b64 v[0:1], 4, v[0:1]
	v_add_co_u32_e32 v0, vcc, v11, v0
	v_addc_co_u32_e32 v1, vcc, v12, v1, vcc
	s_waitcnt lgkmcnt(0)
	global_store_dwordx4 v[0:1], v[4:7], off
	ds_read_b128 v[0:3], v10 offset:640
	v_add_u32_e32 v4, 40, v24
	v_mov_b32_e32 v5, v25
	;; [unrolled: 17-line block ×4, first 2 shown]
	v_lshlrev_b64 v[4:5], 4, v[4:5]
	v_add_u32_e32 v24, 0x5a, v24
	v_add_co_u32_e32 v8, vcc, v11, v4
	v_addc_co_u32_e32 v9, vcc, v12, v5, vcc
	ds_read_b128 v[4:7], v10 offset:1440
	s_waitcnt lgkmcnt(1)
	global_store_dwordx4 v[8:9], v[0:3], off
	s_nop 0
	v_lshlrev_b64 v[0:1], 4, v[24:25]
	v_add_co_u32_e32 v0, vcc, v11, v0
	v_addc_co_u32_e32 v1, vcc, v12, v1, vcc
	s_waitcnt lgkmcnt(0)
	global_store_dwordx4 v[0:1], v[4:7], off
.LBB0_20:
	s_endpgm
	.section	.rodata,"a",@progbits
	.p2align	6, 0x0
	.amdhsa_kernel fft_rtc_fwd_len100_factors_10_10_wgs_60_tpt_10_halfLds_dp_op_CI_CI_unitstride_sbrr_C2R_dirReg
		.amdhsa_group_segment_fixed_size 0
		.amdhsa_private_segment_fixed_size 0
		.amdhsa_kernarg_size 104
		.amdhsa_user_sgpr_count 6
		.amdhsa_user_sgpr_private_segment_buffer 1
		.amdhsa_user_sgpr_dispatch_ptr 0
		.amdhsa_user_sgpr_queue_ptr 0
		.amdhsa_user_sgpr_kernarg_segment_ptr 1
		.amdhsa_user_sgpr_dispatch_id 0
		.amdhsa_user_sgpr_flat_scratch_init 0
		.amdhsa_user_sgpr_private_segment_size 0
		.amdhsa_uses_dynamic_stack 0
		.amdhsa_system_sgpr_private_segment_wavefront_offset 0
		.amdhsa_system_sgpr_workgroup_id_x 1
		.amdhsa_system_sgpr_workgroup_id_y 0
		.amdhsa_system_sgpr_workgroup_id_z 0
		.amdhsa_system_sgpr_workgroup_info 0
		.amdhsa_system_vgpr_workitem_id 0
		.amdhsa_next_free_vgpr 75
		.amdhsa_next_free_sgpr 28
		.amdhsa_reserve_vcc 1
		.amdhsa_reserve_flat_scratch 0
		.amdhsa_float_round_mode_32 0
		.amdhsa_float_round_mode_16_64 0
		.amdhsa_float_denorm_mode_32 3
		.amdhsa_float_denorm_mode_16_64 3
		.amdhsa_dx10_clamp 1
		.amdhsa_ieee_mode 1
		.amdhsa_fp16_overflow 0
		.amdhsa_exception_fp_ieee_invalid_op 0
		.amdhsa_exception_fp_denorm_src 0
		.amdhsa_exception_fp_ieee_div_zero 0
		.amdhsa_exception_fp_ieee_overflow 0
		.amdhsa_exception_fp_ieee_underflow 0
		.amdhsa_exception_fp_ieee_inexact 0
		.amdhsa_exception_int_div_zero 0
	.end_amdhsa_kernel
	.text
.Lfunc_end0:
	.size	fft_rtc_fwd_len100_factors_10_10_wgs_60_tpt_10_halfLds_dp_op_CI_CI_unitstride_sbrr_C2R_dirReg, .Lfunc_end0-fft_rtc_fwd_len100_factors_10_10_wgs_60_tpt_10_halfLds_dp_op_CI_CI_unitstride_sbrr_C2R_dirReg
                                        ; -- End function
	.section	.AMDGPU.csdata,"",@progbits
; Kernel info:
; codeLenInByte = 6380
; NumSgprs: 32
; NumVgprs: 75
; ScratchSize: 0
; MemoryBound: 0
; FloatMode: 240
; IeeeMode: 1
; LDSByteSize: 0 bytes/workgroup (compile time only)
; SGPRBlocks: 3
; VGPRBlocks: 18
; NumSGPRsForWavesPerEU: 32
; NumVGPRsForWavesPerEU: 75
; Occupancy: 3
; WaveLimiterHint : 1
; COMPUTE_PGM_RSRC2:SCRATCH_EN: 0
; COMPUTE_PGM_RSRC2:USER_SGPR: 6
; COMPUTE_PGM_RSRC2:TRAP_HANDLER: 0
; COMPUTE_PGM_RSRC2:TGID_X_EN: 1
; COMPUTE_PGM_RSRC2:TGID_Y_EN: 0
; COMPUTE_PGM_RSRC2:TGID_Z_EN: 0
; COMPUTE_PGM_RSRC2:TIDIG_COMP_CNT: 0
	.type	__hip_cuid_b727d56506e8f2a7,@object ; @__hip_cuid_b727d56506e8f2a7
	.section	.bss,"aw",@nobits
	.globl	__hip_cuid_b727d56506e8f2a7
__hip_cuid_b727d56506e8f2a7:
	.byte	0                               ; 0x0
	.size	__hip_cuid_b727d56506e8f2a7, 1

	.ident	"AMD clang version 19.0.0git (https://github.com/RadeonOpenCompute/llvm-project roc-6.4.0 25133 c7fe45cf4b819c5991fe208aaa96edf142730f1d)"
	.section	".note.GNU-stack","",@progbits
	.addrsig
	.addrsig_sym __hip_cuid_b727d56506e8f2a7
	.amdgpu_metadata
---
amdhsa.kernels:
  - .args:
      - .actual_access:  read_only
        .address_space:  global
        .offset:         0
        .size:           8
        .value_kind:     global_buffer
      - .offset:         8
        .size:           8
        .value_kind:     by_value
      - .actual_access:  read_only
        .address_space:  global
        .offset:         16
        .size:           8
        .value_kind:     global_buffer
      - .actual_access:  read_only
        .address_space:  global
        .offset:         24
        .size:           8
        .value_kind:     global_buffer
      - .actual_access:  read_only
        .address_space:  global
        .offset:         32
        .size:           8
        .value_kind:     global_buffer
      - .offset:         40
        .size:           8
        .value_kind:     by_value
      - .actual_access:  read_only
        .address_space:  global
        .offset:         48
        .size:           8
        .value_kind:     global_buffer
      - .actual_access:  read_only
        .address_space:  global
        .offset:         56
        .size:           8
        .value_kind:     global_buffer
      - .offset:         64
        .size:           4
        .value_kind:     by_value
      - .actual_access:  read_only
        .address_space:  global
        .offset:         72
        .size:           8
        .value_kind:     global_buffer
      - .actual_access:  read_only
        .address_space:  global
        .offset:         80
        .size:           8
        .value_kind:     global_buffer
      - .actual_access:  read_only
        .address_space:  global
        .offset:         88
        .size:           8
        .value_kind:     global_buffer
      - .actual_access:  write_only
        .address_space:  global
        .offset:         96
        .size:           8
        .value_kind:     global_buffer
    .group_segment_fixed_size: 0
    .kernarg_segment_align: 8
    .kernarg_segment_size: 104
    .language:       OpenCL C
    .language_version:
      - 2
      - 0
    .max_flat_workgroup_size: 60
    .name:           fft_rtc_fwd_len100_factors_10_10_wgs_60_tpt_10_halfLds_dp_op_CI_CI_unitstride_sbrr_C2R_dirReg
    .private_segment_fixed_size: 0
    .sgpr_count:     32
    .sgpr_spill_count: 0
    .symbol:         fft_rtc_fwd_len100_factors_10_10_wgs_60_tpt_10_halfLds_dp_op_CI_CI_unitstride_sbrr_C2R_dirReg.kd
    .uniform_work_group_size: 1
    .uses_dynamic_stack: false
    .vgpr_count:     75
    .vgpr_spill_count: 0
    .wavefront_size: 64
amdhsa.target:   amdgcn-amd-amdhsa--gfx906
amdhsa.version:
  - 1
  - 2
...

	.end_amdgpu_metadata
